;; amdgpu-corpus repo=zjin-lcf/HeCBench kind=compiled arch=gfx1030 opt=O3
	.amdgcn_target "amdgcn-amd-amdhsa--gfx1030"
	.amdhsa_code_object_version 6
	.text
	.protected	_Z19kernel_1024_one_256PKfS0_S0_S0_Pf ; -- Begin function _Z19kernel_1024_one_256PKfS0_S0_S0_Pf
	.globl	_Z19kernel_1024_one_256PKfS0_S0_S0_Pf
	.p2align	8
	.type	_Z19kernel_1024_one_256PKfS0_S0_S0_Pf,@function
_Z19kernel_1024_one_256PKfS0_S0_S0_Pf:  ; @_Z19kernel_1024_one_256PKfS0_S0_S0_Pf
; %bb.0:
	v_lshl_add_u32 v2, v1, 8, v0
	s_load_dwordx8 s[8:15], s[4:5], 0x0
	v_lshlrev_b32_e32 v0, 2, v0
	s_load_dwordx2 s[0:1], s[4:5], 0x20
	v_mov_b32_e32 v13, 0
	v_lshl_add_u32 v3, s6, 12, v2
	v_lshlrev_b32_e32 v12, 2, v2
	s_mov_b32 s2, -16
	v_add_nc_u32_e32 v5, 0x400, v3
	v_add_nc_u32_e32 v7, 0x800, v3
	v_ashrrev_i32_e32 v4, 31, v3
	v_add_nc_u32_e32 v9, 0xc00, v3
	v_ashrrev_i32_e32 v6, 31, v5
	v_ashrrev_i32_e32 v8, 31, v7
	v_lshlrev_b64 v[3:4], 2, v[3:4]
	v_ashrrev_i32_e32 v10, 31, v9
	v_lshlrev_b64 v[5:6], 2, v[5:6]
	v_lshlrev_b64 v[7:8], 2, v[7:8]
	;; [unrolled: 1-line block ×3, first 2 shown]
	s_waitcnt lgkmcnt(0)
	v_add_co_u32 v3, vcc_lo, s8, v3
	v_add_co_ci_u32_e64 v4, null, s9, v4, vcc_lo
	v_add_co_u32 v5, vcc_lo, s8, v5
	v_add_co_ci_u32_e64 v6, null, s9, v6, vcc_lo
	v_add_co_u32 v7, vcc_lo, s8, v7
	v_add_co_ci_u32_e64 v8, null, s9, v8, vcc_lo
	v_add_co_u32 v9, vcc_lo, s8, v9
	v_add_co_ci_u32_e64 v10, null, s9, v10, vcc_lo
	s_clause 0x3
	global_load_dword v11, v[3:4], off
	global_load_dword v6, v[5:6], off
	;; [unrolled: 1-line block ×4, first 2 shown]
	s_clause 0x1
	global_load_dword v9, v0, s[12:13]
	global_load_dword v10, v0, s[14:15]
	v_add_nc_u32_e32 v4, 0, v0
	v_add_co_u32 v0, s3, s10, v12
	v_lshl_add_u32 v5, v1, 12, 0
	v_add_nc_u32_e32 v3, 0, v12
	v_add_co_ci_u32_e64 v1, null, s11, 0, s3
	s_waitcnt vmcnt(4)
	ds_write2st64_b32 v3, v11, v6 offset1:16
	s_waitcnt vmcnt(2)
	ds_write2st64_b32 v3, v7, v8 offset0:32 offset1:48
	s_waitcnt vmcnt(0)
	ds_write2st64_b32 v4, v9, v10 offset0:144 offset1:148
	ds_write_b32 v3, v13 offset:32768
	s_waitcnt lgkmcnt(0)
	s_barrier
	buffer_gl0_inv
.LBB0_1:                                ; =>This Inner Loop Header: Depth=1
	v_add_co_u32 v6, vcc_lo, 0x1000, v0
	v_add_co_ci_u32_e64 v7, null, 0, v1, vcc_lo
	v_add_co_u32 v8, vcc_lo, 0x2000, v0
	v_add_co_ci_u32_e64 v9, null, 0, v1, vcc_lo
	;; [unrolled: 2-line block ×3, first 2 shown]
	s_clause 0x3
	global_load_dword v12, v[0:1], off
	global_load_dword v6, v[6:7], off
	;; [unrolled: 1-line block ×4, first 2 shown]
	v_add_co_u32 v0, vcc_lo, 0x4000, v0
	v_add_co_ci_u32_e64 v1, null, 0, v1, vcc_lo
	s_add_i32 s2, s2, 16
	s_waitcnt vmcnt(2)
	ds_write2st64_b32 v3, v12, v6 offset0:64 offset1:80
	s_waitcnt vmcnt(0)
	ds_write2st64_b32 v3, v7, v8 offset0:96 offset1:112
	s_waitcnt lgkmcnt(0)
	s_barrier
	buffer_gl0_inv
	ds_read_b32 v8, v5
	ds_read2st64_b32 v[6:7], v4 offset0:64 offset1:68
	ds_read_b32 v10, v3 offset:32768
	ds_read_b32 v11, v4 offset:28672
	s_cmpk_gt_u32 s2, 0x3ef
	s_waitcnt lgkmcnt(1)
	v_fmac_f32_e32 v10, v8, v6
	ds_write_b32 v3, v10 offset:32768
	ds_read_b32 v6, v5 offset:4
	ds_read2st64_b32 v[8:9], v4 offset0:72 offset1:76
	s_waitcnt lgkmcnt(1)
	v_fmac_f32_e32 v10, v6, v7
	ds_write_b32 v3, v10 offset:32768
	ds_read_b32 v6, v5 offset:8
	s_waitcnt lgkmcnt(0)
	v_fmac_f32_e32 v10, v6, v8
	ds_write_b32 v3, v10 offset:32768
	ds_read_b32 v8, v5 offset:12
	ds_read2st64_b32 v[6:7], v4 offset0:80 offset1:84
	s_waitcnt lgkmcnt(1)
	v_fmac_f32_e32 v10, v8, v9
	ds_write_b32 v3, v10 offset:32768
	ds_read_b32 v8, v5 offset:16
	;; [unrolled: 9-line block ×5, first 2 shown]
	s_waitcnt lgkmcnt(0)
	v_fmac_f32_e32 v10, v6, v8
	ds_write_b32 v3, v10 offset:32768
	ds_read_b32 v6, v5 offset:44
	s_waitcnt lgkmcnt(0)
	v_fmac_f32_e32 v10, v6, v9
	ds_write_b32 v3, v10 offset:32768
	ds_read_b32 v6, v5 offset:48
	;; [unrolled: 4-line block ×3, first 2 shown]
	ds_read_b32 v7, v4 offset:29696
	s_waitcnt lgkmcnt(0)
	v_fmac_f32_e32 v10, v6, v7
	ds_write_b32 v3, v10 offset:32768
	ds_read_b32 v6, v5 offset:56
	ds_read_b32 v7, v4 offset:30720
	s_waitcnt lgkmcnt(0)
	v_fmac_f32_e32 v10, v6, v7
	ds_write_b32 v3, v10 offset:32768
	ds_read_b32 v6, v5 offset:60
	ds_read_b32 v7, v4 offset:31744
	v_add_nc_u32_e32 v5, 64, v5
	s_waitcnt lgkmcnt(0)
	v_fmac_f32_e32 v10, v6, v7
	ds_write_b32 v3, v10 offset:32768
	s_waitcnt lgkmcnt(0)
	s_barrier
	buffer_gl0_inv
	s_cbranch_scc0 .LBB0_1
; %bb.2:
	ds_read2st64_b32 v[0:1], v4 offset0:144 offset1:148
	ds_read_b32 v3, v3 offset:32768
	s_lshl_b32 s2, s6, 10
	s_ashr_i32 s3, s2, 31
	s_lshl_b64 s[2:3], s[2:3], 2
	s_add_u32 s0, s0, s2
	s_addc_u32 s1, s1, s3
	s_waitcnt lgkmcnt(0)
	v_fmac_f32_e32 v0, v1, v3
	v_lshlrev_b32_e32 v1, 2, v2
	v_max_f32_e32 v0, 0, v0
	global_store_dword v1, v0, s[0:1]
	s_endpgm
	.section	.rodata,"a",@progbits
	.p2align	6, 0x0
	.amdhsa_kernel _Z19kernel_1024_one_256PKfS0_S0_S0_Pf
		.amdhsa_group_segment_fixed_size 0
		.amdhsa_private_segment_fixed_size 0
		.amdhsa_kernarg_size 40
		.amdhsa_user_sgpr_count 6
		.amdhsa_user_sgpr_private_segment_buffer 1
		.amdhsa_user_sgpr_dispatch_ptr 0
		.amdhsa_user_sgpr_queue_ptr 0
		.amdhsa_user_sgpr_kernarg_segment_ptr 1
		.amdhsa_user_sgpr_dispatch_id 0
		.amdhsa_user_sgpr_flat_scratch_init 0
		.amdhsa_user_sgpr_private_segment_size 0
		.amdhsa_wavefront_size32 1
		.amdhsa_uses_dynamic_stack 0
		.amdhsa_system_sgpr_private_segment_wavefront_offset 0
		.amdhsa_system_sgpr_workgroup_id_x 1
		.amdhsa_system_sgpr_workgroup_id_y 0
		.amdhsa_system_sgpr_workgroup_id_z 0
		.amdhsa_system_sgpr_workgroup_info 0
		.amdhsa_system_vgpr_workitem_id 1
		.amdhsa_next_free_vgpr 14
		.amdhsa_next_free_sgpr 16
		.amdhsa_reserve_vcc 1
		.amdhsa_reserve_flat_scratch 0
		.amdhsa_float_round_mode_32 0
		.amdhsa_float_round_mode_16_64 0
		.amdhsa_float_denorm_mode_32 3
		.amdhsa_float_denorm_mode_16_64 3
		.amdhsa_dx10_clamp 1
		.amdhsa_ieee_mode 1
		.amdhsa_fp16_overflow 0
		.amdhsa_workgroup_processor_mode 1
		.amdhsa_memory_ordered 1
		.amdhsa_forward_progress 1
		.amdhsa_shared_vgpr_count 0
		.amdhsa_exception_fp_ieee_invalid_op 0
		.amdhsa_exception_fp_denorm_src 0
		.amdhsa_exception_fp_ieee_div_zero 0
		.amdhsa_exception_fp_ieee_overflow 0
		.amdhsa_exception_fp_ieee_underflow 0
		.amdhsa_exception_fp_ieee_inexact 0
		.amdhsa_exception_int_div_zero 0
	.end_amdhsa_kernel
	.text
.Lfunc_end0:
	.size	_Z19kernel_1024_one_256PKfS0_S0_S0_Pf, .Lfunc_end0-_Z19kernel_1024_one_256PKfS0_S0_S0_Pf
                                        ; -- End function
	.set _Z19kernel_1024_one_256PKfS0_S0_S0_Pf.num_vgpr, 14
	.set _Z19kernel_1024_one_256PKfS0_S0_S0_Pf.num_agpr, 0
	.set _Z19kernel_1024_one_256PKfS0_S0_S0_Pf.numbered_sgpr, 16
	.set _Z19kernel_1024_one_256PKfS0_S0_S0_Pf.num_named_barrier, 0
	.set _Z19kernel_1024_one_256PKfS0_S0_S0_Pf.private_seg_size, 0
	.set _Z19kernel_1024_one_256PKfS0_S0_S0_Pf.uses_vcc, 1
	.set _Z19kernel_1024_one_256PKfS0_S0_S0_Pf.uses_flat_scratch, 0
	.set _Z19kernel_1024_one_256PKfS0_S0_S0_Pf.has_dyn_sized_stack, 0
	.set _Z19kernel_1024_one_256PKfS0_S0_S0_Pf.has_recursion, 0
	.set _Z19kernel_1024_one_256PKfS0_S0_S0_Pf.has_indirect_call, 0
	.section	.AMDGPU.csdata,"",@progbits
; Kernel info:
; codeLenInByte = 1060
; TotalNumSgprs: 18
; NumVgprs: 14
; ScratchSize: 0
; MemoryBound: 0
; FloatMode: 240
; IeeeMode: 1
; LDSByteSize: 0 bytes/workgroup (compile time only)
; SGPRBlocks: 0
; VGPRBlocks: 1
; NumSGPRsForWavesPerEU: 18
; NumVGPRsForWavesPerEU: 14
; Occupancy: 16
; WaveLimiterHint : 1
; COMPUTE_PGM_RSRC2:SCRATCH_EN: 0
; COMPUTE_PGM_RSRC2:USER_SGPR: 6
; COMPUTE_PGM_RSRC2:TRAP_HANDLER: 0
; COMPUTE_PGM_RSRC2:TGID_X_EN: 1
; COMPUTE_PGM_RSRC2:TGID_Y_EN: 0
; COMPUTE_PGM_RSRC2:TGID_Z_EN: 0
; COMPUTE_PGM_RSRC2:TIDIG_COMP_CNT: 1
	.text
	.protected	_Z19kernel_256_one_1024PKfS0_S0_S0_Pf ; -- Begin function _Z19kernel_256_one_1024PKfS0_S0_S0_Pf
	.globl	_Z19kernel_256_one_1024PKfS0_S0_S0_Pf
	.p2align	8
	.type	_Z19kernel_256_one_1024PKfS0_S0_S0_Pf,@function
_Z19kernel_256_one_1024PKfS0_S0_S0_Pf:  ; @_Z19kernel_256_one_1024PKfS0_S0_S0_Pf
; %bb.0:
	s_load_dwordx8 s[8:15], s[4:5], 0x0
	v_lshl_add_u32 v10, v1, 8, v0
	s_lshl_b32 s0, s7, 8
	s_load_dwordx2 s[2:3], s[4:5], 0x20
	v_add_nc_u32_e32 v2, s0, v0
	v_lshlrev_b32_e32 v1, 10, v1
	v_lshl_add_u32 v4, s6, 10, v10
	s_mov_b32 s1, 0
	s_movk_i32 s4, 0xffe0
	v_ashrrev_i32_e32 v3, 31, v2
	v_ashrrev_i32_e32 v5, 31, v4
	v_lshlrev_b64 v[6:7], 2, v[2:3]
	v_lshlrev_b64 v[3:4], 2, v[4:5]
	s_waitcnt lgkmcnt(0)
	v_add_co_u32 v8, vcc_lo, s12, v6
	v_add_co_ci_u32_e64 v9, null, s13, v7, vcc_lo
	v_add_co_u32 v3, vcc_lo, s8, v3
	v_add_co_ci_u32_e64 v4, null, s9, v4, vcc_lo
	;; [unrolled: 2-line block ×3, first 2 shown]
	global_load_dword v7, v[8:9], off
	global_load_dword v8, v[3:4], off
	;; [unrolled: 1-line block ×3, first 2 shown]
	v_lshl_add_u32 v3, v10, 2, 0
	v_lshl_add_u32 v4, v0, 2, 0
	v_mov_b32_e32 v6, 0
	s_waitcnt vmcnt(1)
	ds_write_b32 v3, v8
	s_waitcnt vmcnt(0)
	ds_write2st64_b32 v4, v7, v5 offset0:160 offset1:164
	ds_write_b32 v3, v6 offset:36864
	s_waitcnt lgkmcnt(0)
	s_barrier
	buffer_gl0_inv
.LBB1_1:                                ; =>This Inner Loop Header: Depth=1
	v_add_nc_u32_e32 v5, v1, v2
	v_add_nc_u32_e32 v2, 0x8000, v2
	s_add_i32 s4, s4, 32
	v_add_nc_u32_e32 v7, 0x1000, v5
	v_add_nc_u32_e32 v9, 0x2000, v5
	v_ashrrev_i32_e32 v6, 31, v5
	v_add_nc_u32_e32 v11, 0x3000, v5
	v_add_nc_u32_e32 v13, 0x4000, v5
	v_ashrrev_i32_e32 v8, 31, v7
	v_ashrrev_i32_e32 v10, 31, v9
	v_add_nc_u32_e32 v15, 0x5000, v5
	v_add_nc_u32_e32 v17, 0x6000, v5
	;; [unrolled: 1-line block ×3, first 2 shown]
	v_lshlrev_b64 v[5:6], 2, v[5:6]
	v_ashrrev_i32_e32 v12, 31, v11
	v_lshlrev_b64 v[7:8], 2, v[7:8]
	v_ashrrev_i32_e32 v14, 31, v13
	;; [unrolled: 2-line block ×3, first 2 shown]
	v_lshlrev_b64 v[11:12], 2, v[11:12]
	v_add_co_u32 v5, vcc_lo, s10, v5
	v_ashrrev_i32_e32 v18, 31, v17
	v_lshlrev_b64 v[13:14], 2, v[13:14]
	v_add_co_ci_u32_e64 v6, null, s11, v6, vcc_lo
	v_add_co_u32 v7, vcc_lo, s10, v7
	v_ashrrev_i32_e32 v20, 31, v19
	v_lshlrev_b64 v[15:16], 2, v[15:16]
	v_add_co_ci_u32_e64 v8, null, s11, v8, vcc_lo
	v_add_co_u32 v9, vcc_lo, s10, v9
	v_lshlrev_b64 v[17:18], 2, v[17:18]
	v_add_co_ci_u32_e64 v10, null, s11, v10, vcc_lo
	v_add_co_u32 v11, vcc_lo, s10, v11
	;; [unrolled: 3-line block ×3, first 2 shown]
	v_add_co_ci_u32_e64 v14, null, s11, v14, vcc_lo
	v_add_co_u32 v15, vcc_lo, s10, v15
	v_add_co_ci_u32_e64 v16, null, s11, v16, vcc_lo
	v_add_co_u32 v17, vcc_lo, s10, v17
	v_add_co_ci_u32_e64 v18, null, s11, v18, vcc_lo
	v_add_co_u32 v19, vcc_lo, s10, v19
	v_add_co_ci_u32_e64 v20, null, s11, v20, vcc_lo
	s_clause 0x7
	global_load_dword v5, v[5:6], off
	global_load_dword v6, v[7:8], off
	;; [unrolled: 1-line block ×8, first 2 shown]
	v_add_nc_u32_e32 v13, s1, v1
	s_addk_i32 s1, 0x80
	s_cmpk_lt_u32 s4, 0xe0
	s_waitcnt vmcnt(6)
	ds_write2st64_b32 v3, v5, v6 offset0:16 offset1:32
	s_waitcnt vmcnt(4)
	ds_write2st64_b32 v3, v7, v8 offset0:48 offset1:64
	;; [unrolled: 2-line block ×4, first 2 shown]
	s_waitcnt lgkmcnt(0)
	s_barrier
	buffer_gl0_inv
	ds_read_b32 v7, v13
	ds_read2st64_b32 v[5:6], v4 offset0:16 offset1:20
	ds_read_b32 v9, v3 offset:36864
	ds_read_b32 v10, v4 offset:32768
	s_waitcnt lgkmcnt(1)
	v_fmac_f32_e32 v9, v7, v5
	ds_write_b32 v3, v9 offset:36864
	ds_read_b32 v5, v13 offset:4
	ds_read2st64_b32 v[7:8], v4 offset0:24 offset1:28
	s_waitcnt lgkmcnt(1)
	v_fmac_f32_e32 v9, v5, v6
	ds_write_b32 v3, v9 offset:36864
	ds_read_b32 v5, v13 offset:8
	s_waitcnt lgkmcnt(0)
	v_fmac_f32_e32 v9, v5, v7
	ds_write_b32 v3, v9 offset:36864
	ds_read_b32 v7, v13 offset:12
	ds_read2st64_b32 v[5:6], v4 offset0:32 offset1:36
	s_waitcnt lgkmcnt(1)
	v_fmac_f32_e32 v9, v7, v8
	ds_write_b32 v3, v9 offset:36864
	;; [unrolled: 9-line block ×13, first 2 shown]
	ds_read_b32 v5, v13 offset:104
	s_waitcnt lgkmcnt(0)
	v_fmac_f32_e32 v9, v5, v7
	ds_write_b32 v3, v9 offset:36864
	ds_read_b32 v5, v13 offset:108
	s_waitcnt lgkmcnt(0)
	v_fmac_f32_e32 v9, v5, v8
	ds_write_b32 v3, v9 offset:36864
	;; [unrolled: 4-line block ×3, first 2 shown]
	ds_read_b32 v5, v13 offset:116
	ds_read_b32 v6, v4 offset:33792
	s_waitcnt lgkmcnt(0)
	v_fmac_f32_e32 v9, v5, v6
	ds_write_b32 v3, v9 offset:36864
	ds_read_b32 v5, v13 offset:120
	ds_read_b32 v6, v4 offset:34816
	s_waitcnt lgkmcnt(0)
	v_fmac_f32_e32 v9, v5, v6
	ds_write_b32 v3, v9 offset:36864
	;; [unrolled: 5-line block ×3, first 2 shown]
	s_waitcnt lgkmcnt(0)
	s_barrier
	buffer_gl0_inv
	s_cbranch_scc1 .LBB1_1
; %bb.2:
	ds_read2st64_b32 v[4:5], v4 offset0:160 offset1:164
	ds_read_b32 v2, v3 offset:36864
	s_lshl_b32 s4, s6, 12
	v_or_b32_e32 v0, v1, v0
	s_ashr_i32 s5, s4, 31
	s_lshl_b64 s[4:5], s[4:5], 2
	s_add_u32 s2, s2, s4
	s_addc_u32 s3, s3, s5
	s_ashr_i32 s1, s0, 31
	v_lshlrev_b32_e32 v0, 2, v0
	s_lshl_b64 s[0:1], s[0:1], 2
	s_add_u32 s0, s2, s0
	s_addc_u32 s1, s3, s1
	s_waitcnt lgkmcnt(0)
	v_fmac_f32_e32 v4, v5, v2
	global_store_dword v0, v4, s[0:1]
	s_endpgm
	.section	.rodata,"a",@progbits
	.p2align	6, 0x0
	.amdhsa_kernel _Z19kernel_256_one_1024PKfS0_S0_S0_Pf
		.amdhsa_group_segment_fixed_size 0
		.amdhsa_private_segment_fixed_size 0
		.amdhsa_kernarg_size 40
		.amdhsa_user_sgpr_count 6
		.amdhsa_user_sgpr_private_segment_buffer 1
		.amdhsa_user_sgpr_dispatch_ptr 0
		.amdhsa_user_sgpr_queue_ptr 0
		.amdhsa_user_sgpr_kernarg_segment_ptr 1
		.amdhsa_user_sgpr_dispatch_id 0
		.amdhsa_user_sgpr_flat_scratch_init 0
		.amdhsa_user_sgpr_private_segment_size 0
		.amdhsa_wavefront_size32 1
		.amdhsa_uses_dynamic_stack 0
		.amdhsa_system_sgpr_private_segment_wavefront_offset 0
		.amdhsa_system_sgpr_workgroup_id_x 1
		.amdhsa_system_sgpr_workgroup_id_y 1
		.amdhsa_system_sgpr_workgroup_id_z 0
		.amdhsa_system_sgpr_workgroup_info 0
		.amdhsa_system_vgpr_workitem_id 1
		.amdhsa_next_free_vgpr 21
		.amdhsa_next_free_sgpr 16
		.amdhsa_reserve_vcc 1
		.amdhsa_reserve_flat_scratch 0
		.amdhsa_float_round_mode_32 0
		.amdhsa_float_round_mode_16_64 0
		.amdhsa_float_denorm_mode_32 3
		.amdhsa_float_denorm_mode_16_64 3
		.amdhsa_dx10_clamp 1
		.amdhsa_ieee_mode 1
		.amdhsa_fp16_overflow 0
		.amdhsa_workgroup_processor_mode 1
		.amdhsa_memory_ordered 1
		.amdhsa_forward_progress 1
		.amdhsa_shared_vgpr_count 0
		.amdhsa_exception_fp_ieee_invalid_op 0
		.amdhsa_exception_fp_denorm_src 0
		.amdhsa_exception_fp_ieee_div_zero 0
		.amdhsa_exception_fp_ieee_overflow 0
		.amdhsa_exception_fp_ieee_underflow 0
		.amdhsa_exception_fp_ieee_inexact 0
		.amdhsa_exception_int_div_zero 0
	.end_amdhsa_kernel
	.text
.Lfunc_end1:
	.size	_Z19kernel_256_one_1024PKfS0_S0_S0_Pf, .Lfunc_end1-_Z19kernel_256_one_1024PKfS0_S0_S0_Pf
                                        ; -- End function
	.set _Z19kernel_256_one_1024PKfS0_S0_S0_Pf.num_vgpr, 21
	.set _Z19kernel_256_one_1024PKfS0_S0_S0_Pf.num_agpr, 0
	.set _Z19kernel_256_one_1024PKfS0_S0_S0_Pf.numbered_sgpr, 16
	.set _Z19kernel_256_one_1024PKfS0_S0_S0_Pf.num_named_barrier, 0
	.set _Z19kernel_256_one_1024PKfS0_S0_S0_Pf.private_seg_size, 0
	.set _Z19kernel_256_one_1024PKfS0_S0_S0_Pf.uses_vcc, 1
	.set _Z19kernel_256_one_1024PKfS0_S0_S0_Pf.uses_flat_scratch, 0
	.set _Z19kernel_256_one_1024PKfS0_S0_S0_Pf.has_dyn_sized_stack, 0
	.set _Z19kernel_256_one_1024PKfS0_S0_S0_Pf.has_recursion, 0
	.set _Z19kernel_256_one_1024PKfS0_S0_S0_Pf.has_indirect_call, 0
	.section	.AMDGPU.csdata,"",@progbits
; Kernel info:
; codeLenInByte = 1680
; TotalNumSgprs: 18
; NumVgprs: 21
; ScratchSize: 0
; MemoryBound: 1
; FloatMode: 240
; IeeeMode: 1
; LDSByteSize: 0 bytes/workgroup (compile time only)
; SGPRBlocks: 0
; VGPRBlocks: 2
; NumSGPRsForWavesPerEU: 18
; NumVGPRsForWavesPerEU: 21
; Occupancy: 16
; WaveLimiterHint : 1
; COMPUTE_PGM_RSRC2:SCRATCH_EN: 0
; COMPUTE_PGM_RSRC2:USER_SGPR: 6
; COMPUTE_PGM_RSRC2:TRAP_HANDLER: 0
; COMPUTE_PGM_RSRC2:TGID_X_EN: 1
; COMPUTE_PGM_RSRC2:TGID_Y_EN: 1
; COMPUTE_PGM_RSRC2:TGID_Z_EN: 0
; COMPUTE_PGM_RSRC2:TIDIG_COMP_CNT: 1
	.text
	.p2alignl 6, 3214868480
	.fill 48, 4, 3214868480
	.section	.AMDGPU.gpr_maximums,"",@progbits
	.set amdgpu.max_num_vgpr, 0
	.set amdgpu.max_num_agpr, 0
	.set amdgpu.max_num_sgpr, 0
	.text
	.type	__hip_cuid_f0dd8abb09996ac5,@object ; @__hip_cuid_f0dd8abb09996ac5
	.section	.bss,"aw",@nobits
	.globl	__hip_cuid_f0dd8abb09996ac5
__hip_cuid_f0dd8abb09996ac5:
	.byte	0                               ; 0x0
	.size	__hip_cuid_f0dd8abb09996ac5, 1

	.ident	"AMD clang version 22.0.0git (https://github.com/RadeonOpenCompute/llvm-project roc-7.2.4 26084 f58b06dce1f9c15707c5f808fd002e18c2accf7e)"
	.section	".note.GNU-stack","",@progbits
	.addrsig
	.addrsig_sym __hip_cuid_f0dd8abb09996ac5
	.amdgpu_metadata
---
amdhsa.kernels:
  - .args:
      - .actual_access:  read_only
        .address_space:  global
        .offset:         0
        .size:           8
        .value_kind:     global_buffer
      - .actual_access:  read_only
        .address_space:  global
        .offset:         8
        .size:           8
        .value_kind:     global_buffer
      - .actual_access:  read_only
        .address_space:  global
        .offset:         16
        .size:           8
        .value_kind:     global_buffer
      - .actual_access:  read_only
        .address_space:  global
        .offset:         24
        .size:           8
        .value_kind:     global_buffer
      - .actual_access:  write_only
        .address_space:  global
        .offset:         32
        .size:           8
        .value_kind:     global_buffer
    .group_segment_fixed_size: 0
    .kernarg_segment_align: 8
    .kernarg_segment_size: 40
    .language:       OpenCL C
    .language_version:
      - 2
      - 0
    .max_flat_workgroup_size: 1024
    .name:           _Z19kernel_1024_one_256PKfS0_S0_S0_Pf
    .private_segment_fixed_size: 0
    .sgpr_count:     18
    .sgpr_spill_count: 0
    .symbol:         _Z19kernel_1024_one_256PKfS0_S0_S0_Pf.kd
    .uniform_work_group_size: 1
    .uses_dynamic_stack: false
    .vgpr_count:     14
    .vgpr_spill_count: 0
    .wavefront_size: 32
    .workgroup_processor_mode: 1
  - .args:
      - .actual_access:  read_only
        .address_space:  global
        .offset:         0
        .size:           8
        .value_kind:     global_buffer
      - .actual_access:  read_only
        .address_space:  global
        .offset:         8
        .size:           8
        .value_kind:     global_buffer
      - .actual_access:  read_only
        .address_space:  global
        .offset:         16
        .size:           8
        .value_kind:     global_buffer
      - .actual_access:  read_only
        .address_space:  global
        .offset:         24
        .size:           8
        .value_kind:     global_buffer
      - .actual_access:  write_only
        .address_space:  global
        .offset:         32
        .size:           8
        .value_kind:     global_buffer
    .group_segment_fixed_size: 0
    .kernarg_segment_align: 8
    .kernarg_segment_size: 40
    .language:       OpenCL C
    .language_version:
      - 2
      - 0
    .max_flat_workgroup_size: 1024
    .name:           _Z19kernel_256_one_1024PKfS0_S0_S0_Pf
    .private_segment_fixed_size: 0
    .sgpr_count:     18
    .sgpr_spill_count: 0
    .symbol:         _Z19kernel_256_one_1024PKfS0_S0_S0_Pf.kd
    .uniform_work_group_size: 1
    .uses_dynamic_stack: false
    .vgpr_count:     21
    .vgpr_spill_count: 0
    .wavefront_size: 32
    .workgroup_processor_mode: 1
amdhsa.target:   amdgcn-amd-amdhsa--gfx1030
amdhsa.version:
  - 1
  - 2
...

	.end_amdgpu_metadata
